;; amdgpu-corpus repo=ROCm/aiter kind=harvested arch=n/a opt=n/a

/root/src/amdgpu-assembly/repos/ROCm__aiter/hsa/gfx950/i8gemm/I8gemm_bf16_perTokenI8_BpreShuffle_16x128.co:	file format elf64-amdgpu

Disassembly of section .text:

0000000000002000 <_ZN5aiter41I8gemm_bf16_perTokenI8_BpreShuffle_16x128E>:
	s_and_b32 s1, s1, 0xffff                                   // 000000002000: 8601FF01 0000FFFF
	s_load_dwordx2 s[16:17], s[0:1], 0x0                       // 000000002008: C0060400 00000000
	s_load_dwordx2 s[4:5], s[0:1], 0x10                        // 000000002010: C0060100 00000010
	s_load_dwordx2 s[8:9], s[0:1], 0x20                        // 000000002018: C0060200 00000020
	s_load_dwordx2 s[20:21], s[0:1], 0x30                      // 000000002020: C0060500 00000030
	s_load_dwordx2 s[24:25], s[0:1], 0x40                      // 000000002028: C0060600 00000040
	s_load_dwordx2 s[28:29], s[0:1], 0x50                      // 000000002030: C0060700 00000050
	s_load_dword s32, s[0:1], 0x60                             // 000000002038: C0020800 00000060
	s_load_dword s33, s[0:1], 0x70                             // 000000002040: C0020840 00000070
	s_load_dword s34, s[0:1], 0x80                             // 000000002048: C0020880 00000080
	s_load_dword s35, s[0:1], 0x90                             // 000000002050: C00208C0 00000090
	s_load_dword s36, s[0:1], 0xa0                             // 000000002058: C0020900 000000A0
	s_load_dword s37, s[0:1], 0xb0                             // 000000002060: C0020940 000000B0
	s_load_dword s38, s[0:1], 0xc0                             // 000000002068: C0020980 000000C0
	v_lshrrev_b32_e32 v1, 10, v0                               // 000000002070: 2002008A
	v_lshrrev_b32_e32 v2, 10, v1                               // 000000002074: 2004028A
	v_and_b32_e32 v2, 0x3ff, v2                                // 000000002078: 260404FF 000003FF
	v_and_b32_e32 v1, 0x3ff, v1                                // 000000002080: 260202FF 000003FF
	v_and_b32_e32 v0, 0x3ff, v0                                // 000000002088: 260000FF 000003FF
	v_lshrrev_b32_e32 v3, 6, v0                                // 000000002090: 20060086
	v_and_b32_e32 v0, 63, v0                                   // 000000002094: 260000BF
	s_mov_b32 s41, s2                                          // 000000002098: BEA90002
	s_mov_b32 s42, s3                                          // 00000000209C: BEAA0003
	s_waitcnt lgkmcnt(0)                                       // 0000000020A0: BF8CC07F
	v_readfirstlane_b32 s44, v3                                // 0000000020A4: 7E580503
	s_mov_b32 s6, 0x80000000                                   // 0000000020A8: BE8600FF 80000000
	s_mov_b32 s10, 0x80000000                                  // 0000000020B0: BE8A00FF 80000000
	s_mov_b32 s22, 0x80000000                                  // 0000000020B8: BE9600FF 80000000
	s_mov_b32 s26, 0x80000000                                  // 0000000020C0: BE9A00FF 80000000
	s_mov_b32 s30, 0x80000000                                  // 0000000020C8: BE9E00FF 80000000
	s_mov_b32 s7, 0x20000                                      // 0000000020D0: BE8700FF 00020000
	s_mov_b32 s11, 0x20000                                     // 0000000020D8: BE8B00FF 00020000
	s_mov_b32 s23, 0x20000                                     // 0000000020E0: BE9700FF 00020000
	s_mov_b32 s27, 0x20000                                     // 0000000020E8: BE9B00FF 00020000
	s_mov_b32 s31, 0x20000                                     // 0000000020F0: BE9F00FF 00020000
	s_and_b32 s5, s5, 0xffff                                   // 0000000020F8: 8605FF05 0000FFFF
	s_and_b32 s9, s9, 0xffff                                   // 000000002100: 8609FF09 0000FFFF
	s_and_b32 s21, s21, 0xffff                                 // 000000002108: 8615FF15 0000FFFF
	s_and_b32 s25, s25, 0xffff                                 // 000000002110: 8619FF19 0000FFFF
	s_and_b32 s29, s29, 0xffff                                 // 000000002118: 861DFF1D 0000FFFF
	s_or_b32 s5, s5, 0x40000                                   // 000000002120: 8705FF05 00040000
	s_or_b32 s9, s9, 0x40000                                   // 000000002128: 8709FF09 00040000
	s_or_b32 s21, s21, 0x40000                                 // 000000002130: 8715FF15 00040000
	s_or_b32 s25, s25, 0x40000                                 // 000000002138: 8719FF19 00040000
	s_or_b32 s29, s29, 0x40000                                 // 000000002140: 871DFF1D 00040000
	s_mov_b32 s56, s41                                         // 000000002148: BEB80029
	s_mov_b32 s57, s38                                         // 00000000214C: BEB90026
	v_cvt_f32_u32_e32 v4, s57                                  // 000000002150: 7E080C39
	s_sub_i32 s47, 0, s57                                      // 000000002154: 81AF3980
	v_rcp_iflag_f32_e32 v4, v4                                 // 000000002158: 7E084704
	s_nop 0                                                    // 00000000215C: BF800000
	v_mul_f32_e32 v4, 0x4f7ffffe, v4                           // 000000002160: 0A0808FF 4F7FFFFE
	v_cvt_u32_f32_e32 v4, v4                                   // 000000002168: 7E080F04
	v_mul_lo_u32 v5, s47, v4                                   // 00000000216C: D2850005 0002082F
	v_mul_hi_u32 v5, v4, v5                                    // 000000002174: D2860005 00020B04
	v_add_u32_e32 v4, v4, v5                                   // 00000000217C: 68080B04
	v_mul_hi_u32 v4, s56, v4                                   // 000000002180: D2860004 00020838
	v_mul_lo_u32 v5, v4, s57                                   // 000000002188: D2850005 00007304
	v_sub_u32_e32 v7, s56, v5                                  // 000000002190: 6A0E0A38
	v_add_u32_e32 v6, 1, v4                                    // 000000002194: 680C0881
	v_cmp_le_u32_e32 vcc, s57, v7                              // 000000002198: 7D960E39
	v_subrev_u32_e32 v5, s57, v7                               // 00000000219C: 6C0A0E39
	s_nop 0                                                    // 0000000021A0: BF800000
	v_cndmask_b32_e32 v4, v4, v6, vcc                          // 0000000021A4: 00080D04
	v_cndmask_b32_e32 v7, v7, v5, vcc                          // 0000000021A8: 000E0B07
	v_add_u32_e32 v5, 1, v4                                    // 0000000021AC: 680A0881
	v_cmp_le_u32_e32 vcc, s57, v7                              // 0000000021B0: 7D960E39
	s_nop 1                                                    // 0000000021B4: BF800001
	v_cndmask_b32_e32 v7, v4, v5, vcc                          // 0000000021B8: 000E0B04
	s_nop 3                                                    // 0000000021BC: BF800003
	v_readfirstlane_b32 s58, v7                                // 0000000021C0: 7E740507
	s_nop 3                                                    // 0000000021C4: BF800003
	s_mov_b32 s41, s58                                         // 0000000021C8: BEA9003A
	s_mul_i32 s47, s41, s38                                    // 0000000021CC: 922F2629
	s_sub_u32 s75, s56, s47                                    // 0000000021D0: 80CB2F38
	s_mov_b32 s56, s34                                         // 0000000021D4: BEB80022
	s_mov_b32 s57, s38                                         // 0000000021D8: BEB90026
	v_cvt_f32_u32_e32 v4, s57                                  // 0000000021DC: 7E080C39
	s_sub_i32 s47, 0, s57                                      // 0000000021E0: 81AF3980
	v_rcp_iflag_f32_e32 v4, v4                                 // 0000000021E4: 7E084704
	s_nop 0                                                    // 0000000021E8: BF800000
	v_mul_f32_e32 v4, 0x4f7ffffe, v4                           // 0000000021EC: 0A0808FF 4F7FFFFE
	v_cvt_u32_f32_e32 v4, v4                                   // 0000000021F4: 7E080F04
	v_mul_lo_u32 v5, s47, v4                                   // 0000000021F8: D2850005 0002082F
	v_mul_hi_u32 v5, v4, v5                                    // 000000002200: D2860005 00020B04
	v_add_u32_e32 v4, v4, v5                                   // 000000002208: 68080B04
	v_mul_hi_u32 v4, s56, v4                                   // 00000000220C: D2860004 00020838
	v_mul_lo_u32 v5, v4, s57                                   // 000000002214: D2850005 00007304
	v_sub_u32_e32 v7, s56, v5                                  // 00000000221C: 6A0E0A38
	v_add_u32_e32 v6, 1, v4                                    // 000000002220: 680C0881
	v_cmp_le_u32_e32 vcc, s57, v7                              // 000000002224: 7D960E39
	v_subrev_u32_e32 v5, s57, v7                               // 000000002228: 6C0A0E39
	s_nop 0                                                    // 00000000222C: BF800000
	v_cndmask_b32_e32 v4, v4, v6, vcc                          // 000000002230: 00080D04
	v_cndmask_b32_e32 v7, v7, v5, vcc                          // 000000002234: 000E0B07
	v_add_u32_e32 v5, 1, v4                                    // 000000002238: 680A0881
	v_cmp_le_u32_e32 vcc, s57, v7                              // 00000000223C: 7D960E39
	s_nop 1                                                    // 000000002240: BF800001
	v_cndmask_b32_e32 v7, v4, v5, vcc                          // 000000002244: 000E0B04
	s_nop 3                                                    // 000000002248: BF800003
	v_readfirstlane_b32 s58, v7                                // 00000000224C: 7E740507
	s_nop 3                                                    // 000000002250: BF800003
	s_add_u32 s58, 0x7f, s58                                   // 000000002254: 803A3AFF 0000007F
	s_lshr_b32 s58, s58, 7                                     // 00000000225C: 8F3A873A
	s_lshl_b32 s76, s58, 7                                     // 000000002260: 8E4C873A
	s_mul_i32 s48, s76, s75                                    // 000000002264: 92304B4C
	s_sub_i32 s47, s34, s48                                    // 000000002268: 81AF3022
	s_cmp_lt_i32 s47, s76                                      // 00000000226C: BF044C2F
	s_cselect_b32 s34, s47, s76                                // 000000002270: 85224C2F
	s_mul_i32 s47, s42, 16                                     // 000000002274: 922F902A
	s_mul_i32 s48, s47, s37                                    // 000000002278: 9230252F
	s_mul_hi_u32 s49, s47, s37                                 // 00000000227C: 9631252F
	s_add_u32 s16, s16, s48                                    // 000000002280: 80103010
	s_addc_u32 s17, s17, s49                                   // 000000002284: 82113111
	s_mul_i32 s47, s41, 0x80                                   // 000000002288: 922FFF29 00000080
	s_mul_i32 s48, s47, 2                                      // 000000002290: 9230822F
	s_mul_hi_u32 s49, s47, 2                                   // 000000002294: 9631822F
	s_add_u32 s16, s16, s48                                    // 000000002298: 80103010
	s_addc_u32 s17, s17, s49                                   // 00000000229C: 82113111
	s_mov_b32 s80, s16                                         // 0000000022A0: BED00010
	s_mov_b32 s81, s17                                         // 0000000022A4: BED10011
	s_mul_i32 s47, s42, 16                                     // 0000000022A8: 922F902A
	s_sub_i32 s48, s32, s47                                    // 0000000022AC: 81B02F20
	s_cmp_lt_u32 s48, 16                                       // 0000000022B0: BF0A9030
	s_cselect_b32 s47, s48, 16                                 // 0000000022B4: 852F9030
	s_mul_i32 s48, s47, s37                                    // 0000000022B8: 9230252F
	s_mov_b32 s18, s48                                         // 0000000022BC: BE920030
	s_mov_b32 s82, 0x80000000                                  // 0000000022C0: BED200FF 80000000
	s_mov_b32 s19, 0x20000                                     // 0000000022C8: BE9300FF 00020000
	s_and_b32 s17, s17, 0xffff                                 // 0000000022D0: 8611FF11 0000FFFF
	s_and_b32 s81, s81, 0xffff                                 // 0000000022D8: 8651FF51 0000FFFF
	s_or_b32 s17, s17, 0x40000                                 // 0000000022E0: 8711FF11 00040000
	s_mov_b32 s45, 0x7060302                                   // 0000000022E8: BEAD00FF 07060302
	v_mov_b32_e32 v13, 0xffff0000                              // 0000000022F0: 7E1A02FF FFFF0000
	v_mov_b32_e32 v14, 0x7fff0000                              // 0000000022F8: 7E1C02FF 7FFF0000
	v_mov_b32_e32 v15, 0x7fff                                  // 000000002300: 7E1E02FF 00007FFF
	s_mul_i32 s47, 0x80, s41                                   // 000000002308: 922F29FF 00000080
	s_mul_hi_u32 s48, 4, s47                                   // 000000002310: 96302F84
	s_add_u32 s29, s29, s48                                    // 000000002314: 801D301D
	s_mul_i32 s48, 4, s47                                      // 000000002318: 92302F84
	s_add_u32 s28, s28, s48                                    // 00000000231C: 801C301C
	s_addc_u32 s29, s29, 0                                     // 000000002320: 821D801D
	s_sub_i32 s48, s33, s47                                    // 000000002324: 81B02F21
	s_cmp_lt_u32 s48, 0x80                                     // 000000002328: BF0AFF30 00000080
	s_cselect_b32 s47, s48, 0x80                               // 000000002330: 852FFF30 00000080
	s_mul_i32 s48, 4, s47                                      // 000000002338: 92302F84
	s_mov_b32 s30, s48                                         // 00000000233C: BE9E0030
	s_mov_b32 s31, 0x20000                                     // 000000002340: BE9F00FF 00020000
	v_lshrrev_b32_e32 v4, 4, v0                                // 000000002348: 20080084
	v_lshlrev_b32_e32 v4, 4, v4                                // 00000000234C: 24080884
	s_mul_i32 s49, s44, 0x80                                   // 000000002350: 9231FF2C 00000080
	v_add_u32_e64 v56, v4, s49                                 // 000000002358: D1340038 00006304
	v_add_u32_e64 v57, v56, 64                                 // 000000002360: D1340039 00018138
	buffer_load_dwordx4 v[58:61], v56, s[28:31], 0 offen       // 000000002368: E05C1000 80073A38
	buffer_load_dwordx4 v[62:65], v57, s[28:31], 0 offen       // 000000002370: E05C1000 80073E39
	s_mul_i32 s47, 16, s42                                     // 000000002378: 922F2A90
	s_mul_hi_u32 s48, 4, s47                                   // 00000000237C: 96302F84
	s_add_u32 s21, s21, s48                                    // 000000002380: 80153015
	s_mul_i32 s48, 4, s47                                      // 000000002384: 92302F84
	s_add_u32 s20, s20, s48                                    // 000000002388: 80143014
	s_addc_u32 s21, s21, 0                                     // 00000000238C: 82158015
	s_sub_i32 s48, s32, s47                                    // 000000002390: 81B02F20
	s_cmp_lt_u32 s48, 16                                       // 000000002394: BF0A9030
	s_cselect_b32 s47, s48, 16                                 // 000000002398: 852F9030
	s_mul_i32 s48, 4, s47                                      // 00000000239C: 92302F84
	s_mov_b32 s22, s48                                         // 0000000023A0: BE960030
	s_mov_b32 s23, 0x20000                                     // 0000000023A4: BE9700FF 00020000
	v_and_b32_e64 v52, v0, 15                                  // 0000000023AC: D1130034 00011F00
	v_lshlrev_b32_e32 v52, 2, v52                              // 0000000023B4: 24686882
	buffer_load_dword v42, v52, s[20:23], 0 offen              // 0000000023B8: E0501000 80052A34
	s_mul_i32 s47, 0x80, s41                                   // 0000000023C0: 922F29FF 00000080
	s_mul_hi_u32 s48, 4, s47                                   // 0000000023C8: 96302F84
	s_add_u32 s25, s25, s48                                    // 0000000023CC: 80193019
	s_mul_i32 s48, 4, s47                                      // 0000000023D0: 92302F84
	s_add_u32 s24, s24, s48                                    // 0000000023D4: 80183018
	s_addc_u32 s25, s25, 0                                     // 0000000023D8: 82198019
	s_sub_i32 s48, s33, s47                                    // 0000000023DC: 81B02F21
	s_cmp_lt_u32 s48, 0x80                                     // 0000000023E0: BF0AFF30 00000080
	s_cselect_b32 s47, s48, 0x80                               // 0000000023E8: 852FFF30 00000080
	s_mul_i32 s48, 4, s47                                      // 0000000023F0: 92302F84
	s_mov_b32 s26, s48                                         // 0000000023F4: BE9A0030
	s_mov_b32 s27, 0x20000                                     // 0000000023F8: BE9B00FF 00020000
	v_lshrrev_b32_e32 v4, 4, v0                                // 000000002400: 20080084
	v_lshlrev_b32_e32 v4, 4, v4                                // 000000002404: 24080884
	s_mul_i32 s49, s44, 0x80                                   // 000000002408: 9231FF2C 00000080
	v_add_u32_e64 v54, v4, s49                                 // 000000002410: D1340036 00006304
	v_add_u32_e64 v55, v54, 64                                 // 000000002418: D1340037 00018136
	buffer_load_dwordx4 v[44:47], v54, s[24:27], 0 offen       // 000000002420: E05C1000 80062C36
	buffer_load_dwordx4 v[48:51], v55, s[24:27], 0 offen       // 000000002428: E05C1000 80063037
	v_lshrrev_b32_e32 v4, 5, v0                                // 000000002430: 20080085
	v_lshlrev_b32_e32 v4, 2, v4                                // 000000002434: 24080882
	v_mul_i32_i24_e32 v4, s35, v4                              // 000000002438: 0C080823
	v_and_b32_e32 v20, 31, v0                                  // 00000000243C: 2628009F
	v_lshlrev_b32_e32 v20, 2, v20                              // 000000002440: 24282882
	s_mul_i32 s47, 16, s42                                     // 000000002444: 922F2A90
	s_sub_i32 s48, s32, s47                                    // 000000002448: 81B02F20
	s_cmp_lt_u32 s48, 16                                       // 00000000244C: BF0A9030
	s_cselect_b32 s48, s48, 16                                 // 000000002450: 85309030
	s_mul_i32 s49, s35, s47                                    // 000000002454: 92312F23
	s_mul_hi_u32 s47, s35, s47                                 // 000000002458: 962F2F23
	s_add_u32 s4, s4, s49                                      // 00000000245C: 80043104
	s_addc_u32 s5, s5, s47                                     // 000000002460: 82052F05
	s_mul_i32 s47, s35, s48                                    // 000000002464: 922F3023
	s_mov_b32 s6, s47                                          // 000000002468: BE86002F
	s_mov_b32 s7, 0x20000                                      // 00000000246C: BE8700FF 00020000
	s_mul_i32 s48, s76, s75                                    // 000000002474: 92304B4C
	s_add_u32 s4, s48, s4                                      // 000000002478: 80040430
	s_addc_u32 s5, 0, s5                                       // 00000000247C: 82050580
	s_sub_u32 s6, s6, s48                                      // 000000002480: 80863006
	s_mul_i32 s47, s35, s44                                    // 000000002484: 922F2C23
	v_add3_u32 v20, v4, v20, s47                               // 000000002488: D1FF0014 00BE2904
	s_lshl_b32 s47, s35, 3                                     // 000000002490: 8E2F8323
	v_add_u32_e32 v21, s47, v20                                // 000000002494: 682A282F
	s_mov_b32 s51, 0x80                                        // 000000002498: BEB300FF 00000080
	s_mov_b32 s47, 16                                          // 0000000024A0: BEAF0090
	s_lshr_b32 s47, s47, 2                                     // 0000000024A4: 8F2F822F
	s_mul_i32 s47, s47, 32                                     // 0000000024A8: 922FA02F
	s_mov_b32 s48, 8                                           // 0000000024AC: BEB00088
	s_add_u32 s47, s47, s48                                    // 0000000024B0: 802F302F
	v_lshrrev_b32_e32 v4, 4, v0                                // 0000000024B4: 20080084
	v_and_b32_e32 v5, 15, v0                                   // 0000000024B8: 260A008F
	v_and_b32_e32 v6, 3, v5                                    // 0000000024BC: 260C0A83
	v_lshrrev_b32_e32 v7, 2, v5                                // 0000000024C0: 200E0A82
	v_lshlrev_b32_e32 v4, 2, v4                                // 0000000024C4: 24080882
	v_mul_lo_u32 v6, v6, s47                                   // 0000000024C8: D2850006 00005F06
	v_lshlrev_b32_e32 v7, 5, v7                                // 0000000024D0: 240E0E85
	v_add_u32_e32 v4, v4, v6                                   // 0000000024D4: 68080D04
	v_add_u32_e32 v4, v4, v7                                   // 0000000024D8: 68080F04
	v_lshlrev_b32_e32 v22, 2, v4                               // 0000000024DC: 242C0882
	s_mul_i32 s47, 0x220, s44                                  // 0000000024E0: 922F2CFF 00000220
	s_add_u32 s53, 0, s47                                      // 0000000024E8: 80352F80
	s_add_u32 s54, 0x880, s53                                  // 0000000024EC: 803635FF 00000880
	s_add_u32 s55, 0x880, s54                                  // 0000000024F4: 803736FF 00000880
	s_mov_b32 s52, 0x800                                       // 0000000024FC: BEB400FF 00000800
	s_mul_i32 s46, 0x80, s41                                   // 000000002504: 922E29FF 00000080
	s_sub_i32 s48, s33, s46                                    // 00000000250C: 81B02E21
	s_cmp_lt_u32 s48, 0x80                                     // 000000002510: BF0AFF30 00000080
	s_cselect_b32 s47, s48, 0x80                               // 000000002518: 852FFF30 00000080
	s_mul_i32 s48, s36, s46                                    // 000000002520: 92302E24
	s_mul_hi_u32 s49, s36, s46                                 // 000000002524: 96312E24
	s_add_u32 s8, s8, s48                                      // 000000002528: 80083008
	s_addc_u32 s9, s9, s49                                     // 00000000252C: 82093109
	s_mul_i32 s48, s36, s47                                    // 000000002530: 92302F24
	s_mov_b32 s10, s48                                         // 000000002534: BE8A0030
	s_mov_b32 s11, 0x20000                                     // 000000002538: BE8B00FF 00020000
	s_lshr_b32 s48, s76, 7                                     // 000000002540: 8F30874C
	s_mul_i32 s47, s52, s75                                    // 000000002544: 922F4B34
	s_mul_i32 s47, s48, s47                                    // 000000002548: 922F2F30
	s_add_u32 s8, s47, s8                                      // 00000000254C: 8008082F
	s_addc_u32 s9, 0, s9                                       // 000000002550: 82090980
	s_sub_u32 s10, s10, s47                                    // 000000002554: 808A2F0A
	s_lshl_b32 s47, s44, 5                                     // 000000002558: 8E2F852C
	s_mul_i32 s47, s36, s47                                    // 00000000255C: 922F2F24
	v_lshlrev_b32_e32 v24, 4, v0                               // 000000002560: 24300084
	v_add_u32_e32 v24, s47, v24                                // 000000002564: 6830302F
	s_mov_b32 s47, 0x400                                       // 000000002568: BEAF00FF 00000400
	v_add_u32_e64 v25, v24, s47                                // 000000002570: D1340019 00005F18
	s_mul_i32 s47, s36, 16                                     // 000000002578: 922F9024
	v_add_u32_e64 v26, v24, s47                                // 00000000257C: D134001A 00005F18
	v_add_u32_e64 v27, v25, s47                                // 000000002584: D134001B 00005F19
	s_add_u32 m0, 0, s53                                       // 00000000258C: 807C3580
	buffer_load_dword v20, s[4:7], 0 offen lds                 // 000000002590: E0511000 80010014
	s_add_u32 m0, 0x100, s53                                   // 000000002598: 807C35FF 00000100
	buffer_load_dword v21, s[4:7], 0 offen lds                 // 0000000025A0: E0511000 80010015
	s_mov_b32 s50, 0                                           // 0000000025A8: BEB20080
	s_add_u32 s47, 0x80, s50                                   // 0000000025AC: 802F32FF 00000080
	s_cmp_lt_u32 s47, s34                                      // 0000000025B4: BF0A222F
	s_cselect_b32 s51, s51, 0                                  // 0000000025B8: 85338033
	s_add_u32 s4, s51, s4                                      // 0000000025BC: 80040433
	s_addc_u32 s5, 0, s5                                       // 0000000025C0: 82050580
	s_sub_u32 s6, s6, s51                                      // 0000000025C4: 80863306
	v_mov_b32_e32 v30, 0                                       // 0000000025C8: 7E3C0280
	v_mov_b32_e32 v31, 0                                       // 0000000025CC: 7E3E0280
	v_mov_b32_e32 v32, 0                                       // 0000000025D0: 7E400280
	v_mov_b32_e32 v33, 0                                       // 0000000025D4: 7E420280
	v_mov_b32_e32 v34, 0                                       // 0000000025D8: 7E440280
	v_mov_b32_e32 v35, 0                                       // 0000000025DC: 7E460280
	v_mov_b32_e32 v36, 0                                       // 0000000025E0: 7E480280
	v_mov_b32_e32 v37, 0                                       // 0000000025E4: 7E4A0280
	buffer_load_dwordx4 a[0:3], v24, s[8:11], 0 offen          // 0000000025E8: E05C1000 80820018
	buffer_load_dwordx4 a[4:7], v25, s[8:11], 0 offen          // 0000000025F0: E05C1000 80820419
	buffer_load_dwordx4 a[8:11], v26, s[8:11], 0 offen         // 0000000025F8: E05C1000 8082081A
	buffer_load_dwordx4 a[12:15], v27, s[8:11], 0 offen        // 000000002600: E05C1000 80820C1B
	s_mov_b32 s50, 0                                           // 000000002608: BEB20080
	s_add_u32 s47, 0x80, s50                                   // 00000000260C: 802F32FF 00000080
	s_cmp_lt_u32 s47, s34                                      // 000000002614: BF0A222F
	s_cselect_b32 s52, s52, 0                                  // 000000002618: 85348034
	s_add_u32 s8, s52, s8                                      // 00000000261C: 80080834
	s_addc_u32 s9, 0, s9                                       // 000000002620: 82090980
	s_sub_u32 s10, s10, s52                                    // 000000002624: 808A340A
	s_add_u32 m0, 0, s54                                       // 000000002628: 807C3680
	buffer_load_dword v20, s[4:7], 0 offen lds                 // 00000000262C: E0511000 80010014
	s_add_u32 m0, 0x100, s54                                   // 000000002634: 807C36FF 00000100
	buffer_load_dword v21, s[4:7], 0 offen lds                 // 00000000263C: E0511000 80010015
	s_mov_b32 s50, 0x80                                        // 000000002644: BEB200FF 00000080
	s_add_u32 s47, 0x80, s50                                   // 00000000264C: 802F32FF 00000080
	s_cmp_lt_u32 s47, s34                                      // 000000002654: BF0A222F
	s_cselect_b32 s51, s51, 0                                  // 000000002658: 85338033
	s_add_u32 s4, s51, s4                                      // 00000000265C: 80040433
	s_addc_u32 s5, 0, s5                                       // 000000002660: 82050580
	s_sub_u32 s6, s6, s51                                      // 000000002664: 80863306
	buffer_load_dwordx4 a[16:19], v24, s[8:11], 0 offen        // 000000002668: E05C1000 80821018
	buffer_load_dwordx4 a[20:23], v25, s[8:11], 0 offen        // 000000002670: E05C1000 80821419
	buffer_load_dwordx4 a[24:27], v26, s[8:11], 0 offen        // 000000002678: E05C1000 8082181A
	buffer_load_dwordx4 a[28:31], v27, s[8:11], 0 offen        // 000000002680: E05C1000 80821C1B
	s_mov_b32 s50, 0x80                                        // 000000002688: BEB200FF 00000080
	s_add_u32 s47, 0x80, s50                                   // 000000002690: 802F32FF 00000080
	s_cmp_lt_u32 s47, s34                                      // 000000002698: BF0A222F
	s_cselect_b32 s52, s52, 0                                  // 00000000269C: 85348034
	s_add_u32 s8, s52, s8                                      // 0000000026A0: 80080834
	s_addc_u32 s9, 0, s9                                       // 0000000026A4: 82090980
	s_sub_u32 s10, s10, s52                                    // 0000000026A8: 808A340A
	s_add_u32 m0, 0, s55                                       // 0000000026AC: 807C3780
	buffer_load_dword v20, s[4:7], 0 offen lds                 // 0000000026B0: E0511000 80010014
	s_add_u32 m0, 0x100, s55                                   // 0000000026B8: 807C37FF 00000100
	buffer_load_dword v21, s[4:7], 0 offen lds                 // 0000000026C0: E0511000 80010015
	s_mov_b32 s50, 0x100                                       // 0000000026C8: BEB200FF 00000100
	s_add_u32 s47, 0x80, s50                                   // 0000000026D0: 802F32FF 00000080
	s_cmp_lt_u32 s47, s34                                      // 0000000026D8: BF0A222F
	s_cselect_b32 s51, s51, 0                                  // 0000000026DC: 85338033
	s_add_u32 s4, s51, s4                                      // 0000000026E0: 80040433
	s_addc_u32 s5, 0, s5                                       // 0000000026E4: 82050580
	s_sub_u32 s6, s6, s51                                      // 0000000026E8: 80863306
	s_mov_b32 s40, s34                                         // 0000000026EC: BEA80022
	s_mov_b32 s39, 0                                           // 0000000026F0: BEA70080
	s_waitcnt vmcnt(12)                                        // 0000000026F4: BF8C0F7C
	s_barrier                                                  // 0000000026F8: BF8A0000
	ds_read_b128 a[48:51], v22                                 // 0000000026FC: DBFE0000 30000016
	ds_read_b128 a[52:55], v22 offset:64                       // 000000002704: DBFE0040 34000016
	s_mov_b32 s47, 0                                           // 00000000270C: BEAF0080
	s_mov_b32 s48, 1.0                                         // 000000002710: BEB000F2
	s_cmp_eq_u32 s47, s75                                      // 000000002714: BF064B2F
	s_cselect_b32 s47, s48, 0                                  // 000000002718: 852F8030
	v_mul_f32_e64 v58, v58, s47                                // 00000000271C: D105003A 00005F3A
	v_mul_f32_e64 v59, v59, s47                                // 000000002724: D105003B 00005F3B
	v_mul_f32_e64 v60, v60, s47                                // 00000000272C: D105003C 00005F3C
	v_mul_f32_e64 v61, v61, s47                                // 000000002734: D105003D 00005F3D
	v_mul_f32_e64 v62, v62, s47                                // 00000000273C: D105003E 00005F3E
	v_mul_f32_e64 v63, v63, s47                                // 000000002744: D105003F 00005F3F
	v_mul_f32_e64 v64, v64, s47                                // 00000000274C: D1050040 00005F40
	v_mul_f32_e64 v65, v65, s47                                // 000000002754: D1050041 00005F41
	v_and_b32_e64 v16, v0, 15                                  // 00000000275C: D1130010 00011F00
	v_mul_lo_u32 v16, v16, s37                                 // 000000002764: D2850010 00004B10
	v_lshrrev_b32_e32 v4, 4, v0                                // 00000000276C: 20080084
	v_mul_i32_i24_e32 v4, 8, v4                                // 000000002770: 0C080888
	v_add_u32_e32 v16, v4, v16                                 // 000000002774: 68202104
	s_mul_i32 s47, 32, s44                                     // 000000002778: 922F2CA0
	s_mul_i32 s47, 2, s47                                      // 00000000277C: 922F2F82
	v_add_u32_e32 v16, s47, v16                                // 000000002780: 6820202F
	s_mul_i32 s47, 16, s37                                     // 000000002784: 922F2590
	s_mul_i32 s47, s44, s37                                    // 000000002788: 922F252C
	v_lshlrev_b32_e32 v5, 2, v0                                // 00000000278C: 240A0082
	v_add_u32_e32 v17, s47, v5                                 // 000000002790: 68220A2F
	s_mul_i32 s47, s42, 16                                     // 000000002794: 922F902A
	s_add_i32 s77, s47, s44                                    // 000000002798: 814D2C2F
	s_cmp_lt_i32 s39, s40                                      // 00000000279C: BF042827
	s_cbranch_scc0 label_032E                                  // 0000000027A0: BF840145

00000000000027a4 <label_01E9>:
	s_waitcnt vmcnt(6) lgkmcnt(0)                              // 0000000027A4: BF8C0076
	s_barrier                                                  // 0000000027A8: BF8A0000
	v_mfma_i32_16x16x32_i8 v[30:33], a[0:1], a[48:49], v[30:33]// 0000000027AC: D3D7001E 1C7A6100
	s_add_u32 m0, 0, s53                                       // 0000000027B4: 807C3580
	buffer_load_dword v20, s[4:7], 0 offen lds                 // 0000000027B8: E0511000 80010014
	v_mfma_i32_16x16x32_i8 v[30:33], a[2:3], a[50:51], v[30:33]// 0000000027C0: D3D7001E 1C7A6502
	ds_read_b128 a[56:59], v22 offset:2176                     // 0000000027C8: DBFE0880 38000016
	v_mfma_i32_16x16x32_i8 v[30:33], a[4:5], a[52:53], v[30:33]// 0000000027D0: D3D7001E 1C7A6904
	s_add_u32 m0, 0x100, s53                                   // 0000000027D8: 807C35FF 00000100
	buffer_load_dword v21, s[4:7], 0 offen lds                 // 0000000027E0: E0511000 80010015
	v_mfma_i32_16x16x32_i8 v[30:33], a[6:7], a[54:55], v[30:33]// 0000000027E8: D3D7001E 1C7A6D06
	ds_read_b128 a[60:63], v22 offset:2240                     // 0000000027F0: DBFE08C0 3C000016
	v_mfma_i32_16x16x32_i8 v[34:37], a[8:9], a[48:49], v[34:37]// 0000000027F8: D3D70022 1C8A6108
	buffer_load_dwordx4 a[32:35], v24, s[8:11], 0 offen        // 000000002800: E05C1000 80822018
	v_mfma_i32_16x16x32_i8 v[34:37], a[10:11], a[50:51], v[34:37]// 000000002808: D3D70022 1C8A650A
	buffer_load_dwordx4 a[36:39], v25, s[8:11], 0 offen        // 000000002810: E05C1000 80822419
	s_add_u32 s47, 0x200, s39                                  // 000000002818: 802F27FF 00000200
	s_cmp_lt_u32 s47, s40                                      // 000000002820: BF0A282F
	s_cselect_b32 s51, s51, 0                                  // 000000002824: 85338033
	s_add_u32 s47, 0x180, s39                                  // 000000002828: 802F27FF 00000180
	s_cmp_lt_u32 s47, s40                                      // 000000002830: BF0A282F
	s_cselect_b32 s52, s52, 0                                  // 000000002834: 85348034
	v_mfma_i32_16x16x32_i8 v[34:37], a[12:13], a[52:53], v[34:37]// 000000002838: D3D70022 1C8A690C
	buffer_load_dwordx4 a[40:43], v26, s[8:11], 0 offen        // 000000002840: E05C1000 8082281A
	v_mfma_i32_16x16x32_i8 v[34:37], a[14:15], a[54:55], v[34:37]// 000000002848: D3D70022 1C8A6D0E
	buffer_load_dwordx4 a[44:47], v27, s[8:11], 0 offen        // 000000002850: E05C1000 80822C1B
	s_add_u32 s4, s51, s4                                      // 000000002858: 80040433
	s_addc_u32 s5, 0, s5                                       // 00000000285C: 82050580
	s_sub_u32 s6, s6, s51                                      // 000000002860: 80863306
	s_add_u32 s8, s52, s8                                      // 000000002864: 80080834
	s_addc_u32 s9, 0, s9                                       // 000000002868: 82090980
	s_sub_u32 s10, s10, s52                                    // 00000000286C: 808A340A
	s_addk_i32 s39, 0x80                                       // 000000002870: B7270080
	s_cmp_lt_i32 s39, s40                                      // 000000002874: BF042827
	s_cbranch_scc0 label_032E                                  // 000000002878: BF84010F
	s_waitcnt vmcnt(6) lgkmcnt(0)                              // 00000000287C: BF8C0076
	s_barrier                                                  // 000000002880: BF8A0000
	v_mfma_i32_16x16x32_i8 v[30:33], a[16:17], a[56:57], v[30:33]// 000000002884: D3D7001E 1C7A7110
	s_add_u32 m0, 0, s54                                       // 00000000288C: 807C3680
	buffer_load_dword v20, s[4:7], 0 offen lds                 // 000000002890: E0511000 80010014
	v_mfma_i32_16x16x32_i8 v[30:33], a[18:19], a[58:59], v[30:33]// 000000002898: D3D7001E 1C7A7512
	ds_read_b128 a[48:51], v22 offset:4352                     // 0000000028A0: DBFE1100 30000016
	v_mfma_i32_16x16x32_i8 v[30:33], a[20:21], a[60:61], v[30:33]// 0000000028A8: D3D7001E 1C7A7914
	s_add_u32 m0, 0x100, s54                                   // 0000000028B0: 807C36FF 00000100
	buffer_load_dword v21, s[4:7], 0 offen lds                 // 0000000028B8: E0511000 80010015
	v_mfma_i32_16x16x32_i8 v[30:33], a[22:23], a[62:63], v[30:33]// 0000000028C0: D3D7001E 1C7A7D16
	ds_read_b128 a[52:55], v22 offset:4416                     // 0000000028C8: DBFE1140 34000016
	v_mfma_i32_16x16x32_i8 v[34:37], a[24:25], a[56:57], v[34:37]// 0000000028D0: D3D70022 1C8A7118
	buffer_load_dwordx4 a[0:3], v24, s[8:11], 0 offen          // 0000000028D8: E05C1000 80820018
	v_mfma_i32_16x16x32_i8 v[34:37], a[26:27], a[58:59], v[34:37]// 0000000028E0: D3D70022 1C8A751A
	buffer_load_dwordx4 a[4:7], v25, s[8:11], 0 offen          // 0000000028E8: E05C1000 80820419
	s_add_u32 s47, 0x200, s39                                  // 0000000028F0: 802F27FF 00000200
	s_cmp_lt_u32 s47, s40                                      // 0000000028F8: BF0A282F
	s_cselect_b32 s51, s51, 0                                  // 0000000028FC: 85338033
	s_add_u32 s47, 0x180, s39                                  // 000000002900: 802F27FF 00000180
	s_cmp_lt_u32 s47, s40                                      // 000000002908: BF0A282F
	s_cselect_b32 s52, s52, 0                                  // 00000000290C: 85348034
	v_mfma_i32_16x16x32_i8 v[34:37], a[28:29], a[60:61], v[34:37]// 000000002910: D3D70022 1C8A791C
	buffer_load_dwordx4 a[8:11], v26, s[8:11], 0 offen         // 000000002918: E05C1000 8082081A
	v_mfma_i32_16x16x32_i8 v[34:37], a[30:31], a[62:63], v[34:37]// 000000002920: D3D70022 1C8A7D1E
	buffer_load_dwordx4 a[12:15], v27, s[8:11], 0 offen        // 000000002928: E05C1000 80820C1B
	s_add_u32 s4, s51, s4                                      // 000000002930: 80040433
	s_addc_u32 s5, 0, s5                                       // 000000002934: 82050580
	s_sub_u32 s6, s6, s51                                      // 000000002938: 80863306
	s_add_u32 s8, s52, s8                                      // 00000000293C: 80080834
	s_addc_u32 s9, 0, s9                                       // 000000002940: 82090980
	s_sub_u32 s10, s10, s52                                    // 000000002944: 808A340A
	s_addk_i32 s39, 0x80                                       // 000000002948: B7270080
	s_cmp_lt_i32 s39, s40                                      // 00000000294C: BF042827
	s_cbranch_scc0 label_032E                                  // 000000002950: BF8400D9
	s_waitcnt vmcnt(6) lgkmcnt(0)                              // 000000002954: BF8C0076
	s_barrier                                                  // 000000002958: BF8A0000
	v_mfma_i32_16x16x32_i8 v[30:33], a[32:33], a[48:49], v[30:33]// 00000000295C: D3D7001E 1C7A6120
	s_add_u32 m0, 0, s55                                       // 000000002964: 807C3780
	buffer_load_dword v20, s[4:7], 0 offen lds                 // 000000002968: E0511000 80010014
	v_mfma_i32_16x16x32_i8 v[30:33], a[34:35], a[50:51], v[30:33]// 000000002970: D3D7001E 1C7A6522
	ds_read_b128 a[56:59], v22                                 // 000000002978: DBFE0000 38000016
	v_mfma_i32_16x16x32_i8 v[30:33], a[36:37], a[52:53], v[30:33]// 000000002980: D3D7001E 1C7A6924
	s_add_u32 m0, 0x100, s55                                   // 000000002988: 807C37FF 00000100
	buffer_load_dword v21, s[4:7], 0 offen lds                 // 000000002990: E0511000 80010015
	v_mfma_i32_16x16x32_i8 v[30:33], a[38:39], a[54:55], v[30:33]// 000000002998: D3D7001E 1C7A6D26
	ds_read_b128 a[60:63], v22 offset:64                       // 0000000029A0: DBFE0040 3C000016
	v_mfma_i32_16x16x32_i8 v[34:37], a[40:41], a[48:49], v[34:37]// 0000000029A8: D3D70022 1C8A6128
	buffer_load_dwordx4 a[16:19], v24, s[8:11], 0 offen        // 0000000029B0: E05C1000 80821018
	v_mfma_i32_16x16x32_i8 v[34:37], a[42:43], a[50:51], v[34:37]// 0000000029B8: D3D70022 1C8A652A
	buffer_load_dwordx4 a[20:23], v25, s[8:11], 0 offen        // 0000000029C0: E05C1000 80821419
	s_add_u32 s47, 0x200, s39                                  // 0000000029C8: 802F27FF 00000200
	s_cmp_lt_u32 s47, s40                                      // 0000000029D0: BF0A282F
	s_cselect_b32 s51, s51, 0                                  // 0000000029D4: 85338033
	s_add_u32 s47, 0x180, s39                                  // 0000000029D8: 802F27FF 00000180
	s_cmp_lt_u32 s47, s40                                      // 0000000029E0: BF0A282F
	s_cselect_b32 s52, s52, 0                                  // 0000000029E4: 85348034
	v_mfma_i32_16x16x32_i8 v[34:37], a[44:45], a[52:53], v[34:37]// 0000000029E8: D3D70022 1C8A692C
	buffer_load_dwordx4 a[24:27], v26, s[8:11], 0 offen        // 0000000029F0: E05C1000 8082181A
	v_mfma_i32_16x16x32_i8 v[34:37], a[46:47], a[54:55], v[34:37]// 0000000029F8: D3D70022 1C8A6D2E
	buffer_load_dwordx4 a[28:31], v27, s[8:11], 0 offen        // 000000002A00: E05C1000 80821C1B
	s_add_u32 s4, s51, s4                                      // 000000002A08: 80040433
	s_addc_u32 s5, 0, s5                                       // 000000002A0C: 82050580
	s_sub_u32 s6, s6, s51                                      // 000000002A10: 80863306
	s_add_u32 s8, s52, s8                                      // 000000002A14: 80080834
	s_addc_u32 s9, 0, s9                                       // 000000002A18: 82090980
	s_sub_u32 s10, s10, s52                                    // 000000002A1C: 808A340A
	s_addk_i32 s39, 0x80                                       // 000000002A20: B7270080
	s_cmp_lt_i32 s39, s40                                      // 000000002A24: BF042827
	s_cbranch_scc0 label_032E                                  // 000000002A28: BF8400A3
	s_waitcnt vmcnt(6) lgkmcnt(0)                              // 000000002A2C: BF8C0076
	s_barrier                                                  // 000000002A30: BF8A0000
	v_mfma_i32_16x16x32_i8 v[30:33], a[0:1], a[56:57], v[30:33]// 000000002A34: D3D7001E 1C7A7100
	s_add_u32 m0, 0, s53                                       // 000000002A3C: 807C3580
	buffer_load_dword v20, s[4:7], 0 offen lds                 // 000000002A40: E0511000 80010014
	v_mfma_i32_16x16x32_i8 v[30:33], a[2:3], a[58:59], v[30:33]// 000000002A48: D3D7001E 1C7A7502
	ds_read_b128 a[48:51], v22 offset:2176                     // 000000002A50: DBFE0880 30000016
	v_mfma_i32_16x16x32_i8 v[30:33], a[4:5], a[60:61], v[30:33]// 000000002A58: D3D7001E 1C7A7904
	s_add_u32 m0, 0x100, s53                                   // 000000002A60: 807C35FF 00000100
	buffer_load_dword v21, s[4:7], 0 offen lds                 // 000000002A68: E0511000 80010015
	v_mfma_i32_16x16x32_i8 v[30:33], a[6:7], a[62:63], v[30:33]// 000000002A70: D3D7001E 1C7A7D06
	ds_read_b128 a[52:55], v22 offset:2240                     // 000000002A78: DBFE08C0 34000016
	v_mfma_i32_16x16x32_i8 v[34:37], a[8:9], a[56:57], v[34:37]// 000000002A80: D3D70022 1C8A7108
	buffer_load_dwordx4 a[32:35], v24, s[8:11], 0 offen        // 000000002A88: E05C1000 80822018
	v_mfma_i32_16x16x32_i8 v[34:37], a[10:11], a[58:59], v[34:37]// 000000002A90: D3D70022 1C8A750A
	buffer_load_dwordx4 a[36:39], v25, s[8:11], 0 offen        // 000000002A98: E05C1000 80822419
	s_add_u32 s47, 0x200, s39                                  // 000000002AA0: 802F27FF 00000200
	s_cmp_lt_u32 s47, s40                                      // 000000002AA8: BF0A282F
	s_cselect_b32 s51, s51, 0                                  // 000000002AAC: 85338033
	s_add_u32 s47, 0x180, s39                                  // 000000002AB0: 802F27FF 00000180
	s_cmp_lt_u32 s47, s40                                      // 000000002AB8: BF0A282F
	s_cselect_b32 s52, s52, 0                                  // 000000002ABC: 85348034
	v_mfma_i32_16x16x32_i8 v[34:37], a[12:13], a[60:61], v[34:37]// 000000002AC0: D3D70022 1C8A790C
	buffer_load_dwordx4 a[40:43], v26, s[8:11], 0 offen        // 000000002AC8: E05C1000 8082281A
	v_mfma_i32_16x16x32_i8 v[34:37], a[14:15], a[62:63], v[34:37]// 000000002AD0: D3D70022 1C8A7D0E
	buffer_load_dwordx4 a[44:47], v27, s[8:11], 0 offen        // 000000002AD8: E05C1000 80822C1B
	s_add_u32 s4, s51, s4                                      // 000000002AE0: 80040433
	s_addc_u32 s5, 0, s5                                       // 000000002AE4: 82050580
	s_sub_u32 s6, s6, s51                                      // 000000002AE8: 80863306
	s_add_u32 s8, s52, s8                                      // 000000002AEC: 80080834
	s_addc_u32 s9, 0, s9                                       // 000000002AF0: 82090980
	s_sub_u32 s10, s10, s52                                    // 000000002AF4: 808A340A
	s_addk_i32 s39, 0x80                                       // 000000002AF8: B7270080
	s_cmp_lt_i32 s39, s40                                      // 000000002AFC: BF042827
	s_cbranch_scc0 label_032E                                  // 000000002B00: BF84006D
	s_waitcnt vmcnt(6) lgkmcnt(0)                              // 000000002B04: BF8C0076
	s_barrier                                                  // 000000002B08: BF8A0000
	v_mfma_i32_16x16x32_i8 v[30:33], a[16:17], a[48:49], v[30:33]// 000000002B0C: D3D7001E 1C7A6110
	s_add_u32 m0, 0, s54                                       // 000000002B14: 807C3680
	buffer_load_dword v20, s[4:7], 0 offen lds                 // 000000002B18: E0511000 80010014
	v_mfma_i32_16x16x32_i8 v[30:33], a[18:19], a[50:51], v[30:33]// 000000002B20: D3D7001E 1C7A6512
	ds_read_b128 a[56:59], v22 offset:4352                     // 000000002B28: DBFE1100 38000016
	v_mfma_i32_16x16x32_i8 v[30:33], a[20:21], a[52:53], v[30:33]// 000000002B30: D3D7001E 1C7A6914
	s_add_u32 m0, 0x100, s54                                   // 000000002B38: 807C36FF 00000100
	buffer_load_dword v21, s[4:7], 0 offen lds                 // 000000002B40: E0511000 80010015
	v_mfma_i32_16x16x32_i8 v[30:33], a[22:23], a[54:55], v[30:33]// 000000002B48: D3D7001E 1C7A6D16
	ds_read_b128 a[60:63], v22 offset:4416                     // 000000002B50: DBFE1140 3C000016
	v_mfma_i32_16x16x32_i8 v[34:37], a[24:25], a[48:49], v[34:37]// 000000002B58: D3D70022 1C8A6118
	buffer_load_dwordx4 a[0:3], v24, s[8:11], 0 offen          // 000000002B60: E05C1000 80820018
	v_mfma_i32_16x16x32_i8 v[34:37], a[26:27], a[50:51], v[34:37]// 000000002B68: D3D70022 1C8A651A
	buffer_load_dwordx4 a[4:7], v25, s[8:11], 0 offen          // 000000002B70: E05C1000 80820419
	s_add_u32 s47, 0x200, s39                                  // 000000002B78: 802F27FF 00000200
	s_cmp_lt_u32 s47, s40                                      // 000000002B80: BF0A282F
	s_cselect_b32 s51, s51, 0                                  // 000000002B84: 85338033
	s_add_u32 s47, 0x180, s39                                  // 000000002B88: 802F27FF 00000180
	s_cmp_lt_u32 s47, s40                                      // 000000002B90: BF0A282F
	s_cselect_b32 s52, s52, 0                                  // 000000002B94: 85348034
	v_mfma_i32_16x16x32_i8 v[34:37], a[28:29], a[52:53], v[34:37]// 000000002B98: D3D70022 1C8A691C
	buffer_load_dwordx4 a[8:11], v26, s[8:11], 0 offen         // 000000002BA0: E05C1000 8082081A
	v_mfma_i32_16x16x32_i8 v[34:37], a[30:31], a[54:55], v[34:37]// 000000002BA8: D3D70022 1C8A6D1E
	buffer_load_dwordx4 a[12:15], v27, s[8:11], 0 offen        // 000000002BB0: E05C1000 80820C1B
	s_add_u32 s4, s51, s4                                      // 000000002BB8: 80040433
	s_addc_u32 s5, 0, s5                                       // 000000002BBC: 82050580
	s_sub_u32 s6, s6, s51                                      // 000000002BC0: 80863306
	s_add_u32 s8, s52, s8                                      // 000000002BC4: 80080834
	s_addc_u32 s9, 0, s9                                       // 000000002BC8: 82090980
	s_sub_u32 s10, s10, s52                                    // 000000002BCC: 808A340A
	s_addk_i32 s39, 0x80                                       // 000000002BD0: B7270080
	s_cmp_lt_i32 s39, s40                                      // 000000002BD4: BF042827
	s_cbranch_scc0 label_032E                                  // 000000002BD8: BF840037
	s_waitcnt vmcnt(6) lgkmcnt(0)                              // 000000002BDC: BF8C0076
	s_barrier                                                  // 000000002BE0: BF8A0000
	v_mfma_i32_16x16x32_i8 v[30:33], a[32:33], a[56:57], v[30:33]// 000000002BE4: D3D7001E 1C7A7120
	s_add_u32 m0, 0, s55                                       // 000000002BEC: 807C3780
	buffer_load_dword v20, s[4:7], 0 offen lds                 // 000000002BF0: E0511000 80010014
	v_mfma_i32_16x16x32_i8 v[30:33], a[34:35], a[58:59], v[30:33]// 000000002BF8: D3D7001E 1C7A7522
	ds_read_b128 a[48:51], v22                                 // 000000002C00: DBFE0000 30000016
	v_mfma_i32_16x16x32_i8 v[30:33], a[36:37], a[60:61], v[30:33]// 000000002C08: D3D7001E 1C7A7924
	s_add_u32 m0, 0x100, s55                                   // 000000002C10: 807C37FF 00000100
	buffer_load_dword v21, s[4:7], 0 offen lds                 // 000000002C18: E0511000 80010015
	v_mfma_i32_16x16x32_i8 v[30:33], a[38:39], a[62:63], v[30:33]// 000000002C20: D3D7001E 1C7A7D26
	ds_read_b128 a[52:55], v22 offset:64                       // 000000002C28: DBFE0040 34000016
	v_mfma_i32_16x16x32_i8 v[34:37], a[40:41], a[56:57], v[34:37]// 000000002C30: D3D70022 1C8A7128
	buffer_load_dwordx4 a[16:19], v24, s[8:11], 0 offen        // 000000002C38: E05C1000 80821018
	v_mfma_i32_16x16x32_i8 v[34:37], a[42:43], a[58:59], v[34:37]// 000000002C40: D3D70022 1C8A752A
	buffer_load_dwordx4 a[20:23], v25, s[8:11], 0 offen        // 000000002C48: E05C1000 80821419
	s_add_u32 s47, 0x200, s39                                  // 000000002C50: 802F27FF 00000200
	s_cmp_lt_u32 s47, s40                                      // 000000002C58: BF0A282F
	s_cselect_b32 s51, s51, 0                                  // 000000002C5C: 85338033
	s_add_u32 s47, 0x180, s39                                  // 000000002C60: 802F27FF 00000180
	s_cmp_lt_u32 s47, s40                                      // 000000002C68: BF0A282F
	s_cselect_b32 s52, s52, 0                                  // 000000002C6C: 85348034
	v_mfma_i32_16x16x32_i8 v[34:37], a[44:45], a[60:61], v[34:37]// 000000002C70: D3D70022 1C8A792C
	buffer_load_dwordx4 a[24:27], v26, s[8:11], 0 offen        // 000000002C78: E05C1000 8082181A
	v_mfma_i32_16x16x32_i8 v[34:37], a[46:47], a[62:63], v[34:37]// 000000002C80: D3D70022 1C8A7D2E
	buffer_load_dwordx4 a[28:31], v27, s[8:11], 0 offen        // 000000002C88: E05C1000 80821C1B
	s_add_u32 s4, s51, s4                                      // 000000002C90: 80040433
	s_addc_u32 s5, 0, s5                                       // 000000002C94: 82050580
	s_sub_u32 s6, s6, s51                                      // 000000002C98: 80863306
	s_add_u32 s8, s52, s8                                      // 000000002C9C: 80080834
	s_addc_u32 s9, 0, s9                                       // 000000002CA0: 82090980
	s_sub_u32 s10, s10, s52                                    // 000000002CA4: 808A340A
	s_addk_i32 s39, 0x80                                       // 000000002CA8: B7270080
	s_cmp_lt_i32 s39, s40                                      // 000000002CAC: BF042827
	s_cbranch_scc0 label_032E                                  // 000000002CB0: BF840001
	s_branch label_01E9                                        // 000000002CB4: BF82FEBB

0000000000002cb8 <label_032E>:
	s_cmp_eq_u32 s38, 1                                        // 000000002CB8: BF068126
	s_cbranch_scc1 label_03A1                                  // 000000002CBC: BF850071
	v_cvt_f32_i32_e32 v30, v30                                 // 000000002CC0: 7E3C0B1E
	v_cvt_f32_i32_e32 v31, v31                                 // 000000002CC4: 7E3E0B1F
	v_pk_mul_f32 v[30:31], v[30:31], v[44:45]                  // 000000002CC8: D3B1401E 1802591E
	v_fma_f32 v30, v30, v42, v58                               // 000000002CD0: D1CB001E 04EA551E
	v_fma_f32 v31, v31, v42, v59                               // 000000002CD8: D1CB001F 04EE551F
	v_perm_b32 v38, v31, v30, s45                              // 000000002CE0: D1ED0026 00B63D1F
	v_cvt_f32_i32_e32 v32, v32                                 // 000000002CE8: 7E400B20
	v_cvt_f32_i32_e32 v33, v33                                 // 000000002CEC: 7E420B21
	v_pk_mul_f32 v[32:33], v[32:33], v[46:47]                  // 000000002CF0: D3B14020 18025D20
	v_fma_f32 v32, v32, v42, v60                               // 000000002CF8: D1CB0020 04F25520
	v_fma_f32 v33, v33, v42, v61                               // 000000002D00: D1CB0021 04F65521
	v_perm_b32 v39, v33, v32, s45                              // 000000002D08: D1ED0027 00B64121
	v_cvt_f32_i32_e32 v34, v34                                 // 000000002D10: 7E440B22
	v_cvt_f32_i32_e32 v35, v35                                 // 000000002D14: 7E460B23
	v_pk_mul_f32 v[34:35], v[34:35], v[48:49]                  // 000000002D18: D3B14022 18026122
	v_fma_f32 v34, v34, v42, v62                               // 000000002D20: D1CB0022 04FA5522
	v_fma_f32 v35, v35, v42, v63                               // 000000002D28: D1CB0023 04FE5523
	v_perm_b32 v40, v35, v34, s45                              // 000000002D30: D1ED0028 00B64523
	v_cvt_f32_i32_e32 v36, v36                                 // 000000002D38: 7E480B24
	v_cvt_f32_i32_e32 v37, v37                                 // 000000002D3C: 7E4A0B25
	v_pk_mul_f32 v[36:37], v[36:37], v[50:51]                  // 000000002D40: D3B14024 18026524
	v_fma_f32 v36, v36, v42, v64                               // 000000002D48: D1CB0024 05025524
	v_fma_f32 v37, v37, v42, v65                               // 000000002D50: D1CB0025 05065525
	v_perm_b32 v41, v37, v36, s45                              // 000000002D58: D1ED0029 00B64925
	v_lshrrev_b32_e32 v4, 4, v0                                // 000000002D60: 20080084
	v_mul_u32_u24_e32 v22, 34, v4                              // 000000002D64: 102C08A2
	v_and_b32_e32 v4, 15, v0                                   // 000000002D68: 2608008F
	v_mul_lo_u32 v5, 2, v4                                     // 000000002D6C: D2850005 00020882
	v_add_u32_e32 v22, v5, v22                                 // 000000002D74: 682C2D05
	s_mul_i32 s47, s44, 0x110                                  // 000000002D78: 922FFF2C 00000110
	v_add_u32_e32 v22, s47, v22                                // 000000002D80: 682C2C2F
	v_lshlrev_b32_e32 v22, 2, v22                              // 000000002D84: 242C2C82
	v_lshrrev_b32_e32 v4, 1, v0                                // 000000002D88: 20080081
	v_mul_u32_u24_e32 v28, 34, v4                              // 000000002D8C: 103808A2
	v_and_b32_e32 v5, 1, v0                                    // 000000002D90: 260A0081
	v_add_u32_e32 v28, v5, v28                                 // 000000002D94: 68383905
	s_mul_i32 s47, s44, 2                                      // 000000002D98: 922F822C
	v_add_u32_e32 v28, s47, v28                                // 000000002D9C: 6838382F
	v_lshlrev_b32_e32 v28, 2, v28                              // 000000002DA0: 24383882
	s_waitcnt vmcnt(0) expcnt(0) lgkmcnt(0)                    // 000000002DA4: BF8C0000
	s_barrier                                                  // 000000002DA8: BF8A0000
	ds_write_b64 v22, v[38:39]                                 // 000000002DAC: D89A0000 00002616
	ds_write_b64 v22, v[40:41] offset:544                      // 000000002DB4: D89A0220 00002816
	s_waitcnt lgkmcnt(0)                                       // 000000002DBC: BF8CC07F
	s_barrier                                                  // 000000002DC0: BF8A0000
	ds_read_b32 v38, v28                                       // 000000002DC4: D86C0000 2600001C
	ds_read_b32 v39, v28 offset:32                             // 000000002DCC: D86C0020 2700001C
	ds_read_b32 v40, v28 offset:64                             // 000000002DD4: D86C0040 2800001C
	ds_read_b32 v41, v28 offset:96                             // 000000002DDC: D86C0060 2900001C
	s_waitcnt lgkmcnt(0)                                       // 000000002DE4: BF8CC07F
	s_barrier                                                  // 000000002DE8: BF8A0000
	s_mul_i32 s47, s37, 4                                      // 000000002DEC: 922F8425
	s_mul_i32 s48, s37, 8                                      // 000000002DF0: 92308825
	s_mul_i32 s49, s37, 16                                     // 000000002DF4: 92319025
	v_mov_b32_e32 v4, v17                                      // 000000002DF8: 7E080311
	v_mov_b32_e32 v5, 0                                        // 000000002DFC: 7E0A0280
	v_mov_b32_e32 v7, 0                                        // 000000002E00: 7E0E0280
	v_mov_b32_e32 v9, 0                                        // 000000002E04: 7E120280
	v_mov_b32_e32 v11, 0                                       // 000000002E08: 7E160280
	v_mov_b32_e32 v6, v4                                       // 000000002E0C: 7E0C0304
	v_add_u32_e64 v10, v4, s48                                 // 000000002E10: D134000A 00006104
	s_cmp_ge_u32 s77, s32                                      // 000000002E18: BF09204D
	s_cbranch_scc1 label_03CD                                  // 000000002E1C: BF850045
	global_atomic_pk_add_bf16 v6, v38, s[80:81]                // 000000002E20: DD488000 00502606
	v_add_u32_e64 v8, v6, s47                                  // 000000002E28: D1340008 00005F06
	s_add_i32 s77, s77, 4                                      // 000000002E30: 814D844D
	s_cmp_ge_u32 s77, s32                                      // 000000002E34: BF09204D
	s_cbranch_scc1 label_03CD                                  // 000000002E38: BF85003E
	global_atomic_pk_add_bf16 v8, v39, s[80:81]                // 000000002E3C: DD488000 00502708
	s_add_i32 s77, s77, 4                                      // 000000002E44: 814D844D
	s_cmp_ge_u32 s77, s32                                      // 000000002E48: BF09204D
	s_cbranch_scc1 label_03CD                                  // 000000002E4C: BF850039
	global_atomic_pk_add_bf16 v10, v40, s[80:81]               // 000000002E50: DD488000 0050280A
	v_add_u32_e64 v12, v10, s47                                // 000000002E58: D134000C 00005F0A
	s_add_i32 s77, s77, 4                                      // 000000002E60: 814D844D
	s_cmp_ge_u32 s77, s32                                      // 000000002E64: BF09204D
	s_cbranch_scc1 label_03CD                                  // 000000002E68: BF850032
	global_atomic_pk_add_bf16 v12, v41, s[80:81]               // 000000002E6C: DD488000 0050290C
	s_add_i32 s77, s77, 4                                      // 000000002E74: 814D844D
	v_add_u32_e64 v4, v4, s49                                  // 000000002E78: D1340004 00006304
	s_branch label_03CD                                        // 000000002E80: BF82002C

0000000000002e84 <label_03A1>:
	v_cvt_f32_i32_e32 v30, v30                                 // 000000002E84: 7E3C0B1E
	v_cvt_f32_i32_e32 v31, v31                                 // 000000002E88: 7E3E0B1F
	v_pk_mul_f32 v[30:31], v[30:31], v[44:45]                  // 000000002E8C: D3B1401E 1802591E
	v_fma_f32 v30, v30, v42, v58                               // 000000002E94: D1CB001E 04EA551E
	v_fma_f32 v31, v31, v42, v59                               // 000000002E9C: D1CB001F 04EE551F
	v_perm_b32 v38, v31, v30, s45                              // 000000002EA4: D1ED0026 00B63D1F
	v_cvt_f32_i32_e32 v32, v32                                 // 000000002EAC: 7E400B20
	v_cvt_f32_i32_e32 v33, v33                                 // 000000002EB0: 7E420B21
	v_pk_mul_f32 v[32:33], v[32:33], v[46:47]                  // 000000002EB4: D3B14020 18025D20
	v_fma_f32 v32, v32, v42, v60                               // 000000002EBC: D1CB0020 04F25520
	v_fma_f32 v33, v33, v42, v61                               // 000000002EC4: D1CB0021 04F65521
	v_perm_b32 v39, v33, v32, s45                              // 000000002ECC: D1ED0027 00B64121
	buffer_store_dwordx2 v[38:39], v16, s[16:19], 0 offen      // 000000002ED4: E0741000 80042610
	v_cvt_f32_i32_e32 v34, v34                                 // 000000002EDC: 7E440B22
	v_cvt_f32_i32_e32 v35, v35                                 // 000000002EE0: 7E460B23
	v_pk_mul_f32 v[34:35], v[34:35], v[48:49]                  // 000000002EE4: D3B14022 18026122
	v_fma_f32 v34, v34, v42, v62                               // 000000002EEC: D1CB0022 04FA5522
	v_fma_f32 v35, v35, v42, v63                               // 000000002EF4: D1CB0023 04FE5523
	v_perm_b32 v40, v35, v34, s45                              // 000000002EFC: D1ED0028 00B64523
	v_cvt_f32_i32_e32 v36, v36                                 // 000000002F04: 7E480B24
	v_cvt_f32_i32_e32 v37, v37                                 // 000000002F08: 7E4A0B25
	v_pk_mul_f32 v[36:37], v[36:37], v[50:51]                  // 000000002F0C: D3B14024 18026524
	v_fma_f32 v36, v36, v42, v64                               // 000000002F14: D1CB0024 05025524
	v_fma_f32 v37, v37, v42, v65                               // 000000002F1C: D1CB0025 05065525
	v_perm_b32 v41, v37, v36, s45                              // 000000002F24: D1ED0029 00B64925
	buffer_store_dwordx2 v[40:41], v16, s[16:19], 0 offen offset:32// 000000002F2C: E0741020 80042810

0000000000002f34 <label_03CD>:
	s_waitcnt vmcnt(0) expcnt(0) lgkmcnt(0)                    // 000000002F34: BF8C0000
	s_endpgm                                                   // 000000002F38: BF810000
